;; amdgpu-corpus repo=ROCm/rocFFT kind=compiled arch=gfx950 opt=O3
	.text
	.amdgcn_target "amdgcn-amd-amdhsa--gfx950"
	.amdhsa_code_object_version 6
	.protected	fft_rtc_fwd_len70_factors_2_5_7_wgs_252_tpt_14_halfLds_sp_op_CI_CI_unitstride_sbrr_dirReg ; -- Begin function fft_rtc_fwd_len70_factors_2_5_7_wgs_252_tpt_14_halfLds_sp_op_CI_CI_unitstride_sbrr_dirReg
	.globl	fft_rtc_fwd_len70_factors_2_5_7_wgs_252_tpt_14_halfLds_sp_op_CI_CI_unitstride_sbrr_dirReg
	.p2align	8
	.type	fft_rtc_fwd_len70_factors_2_5_7_wgs_252_tpt_14_halfLds_sp_op_CI_CI_unitstride_sbrr_dirReg,@function
fft_rtc_fwd_len70_factors_2_5_7_wgs_252_tpt_14_halfLds_sp_op_CI_CI_unitstride_sbrr_dirReg: ; @fft_rtc_fwd_len70_factors_2_5_7_wgs_252_tpt_14_halfLds_sp_op_CI_CI_unitstride_sbrr_dirReg
; %bb.0:
	s_load_dwordx4 s[4:7], s[0:1], 0x58
	s_load_dwordx4 s[8:11], s[0:1], 0x0
	;; [unrolled: 1-line block ×3, first 2 shown]
	v_mul_u32_u24_e32 v1, 0x124a, v0
	v_lshrrev_b32_e32 v2, 16, v1
	v_mad_u64_u32 v[8:9], s[2:3], s2, 18, v[2:3]
	v_mov_b32_e32 v6, 0
	v_mov_b32_e32 v9, v6
	s_waitcnt lgkmcnt(0)
	v_cmp_lt_u64_e64 s[2:3], s[10:11], 2
	v_mov_b64_e32 v[10:11], 0
	s_and_b64 vcc, exec, s[2:3]
	v_mov_b64_e32 v[2:3], v[10:11]
	v_mov_b64_e32 v[4:5], v[8:9]
	s_cbranch_vccnz .LBB0_8
; %bb.1:
	s_load_dwordx2 s[2:3], s[0:1], 0x10
	s_add_u32 s16, s14, 8
	s_addc_u32 s17, s15, 0
	s_add_u32 s18, s12, 8
	s_addc_u32 s19, s13, 0
	s_waitcnt lgkmcnt(0)
	s_add_u32 s20, s2, 8
	v_mov_b64_e32 v[10:11], 0
	s_addc_u32 s21, s3, 0
	s_mov_b64 s[22:23], 1
	v_mov_b64_e32 v[2:3], v[10:11]
	v_mov_b64_e32 v[12:13], v[8:9]
.LBB0_2:                                ; =>This Inner Loop Header: Depth=1
	s_load_dwordx2 s[24:25], s[20:21], 0x0
                                        ; implicit-def: $vgpr4_vgpr5
	s_waitcnt lgkmcnt(0)
	v_or_b32_e32 v7, s25, v13
	v_cmp_ne_u64_e32 vcc, 0, v[6:7]
	s_and_saveexec_b64 s[2:3], vcc
	s_xor_b64 s[26:27], exec, s[2:3]
	s_cbranch_execz .LBB0_4
; %bb.3:                                ;   in Loop: Header=BB0_2 Depth=1
	v_cvt_f32_u32_e32 v1, s24
	v_cvt_f32_u32_e32 v4, s25
	s_sub_u32 s2, 0, s24
	s_subb_u32 s3, 0, s25
	v_fmac_f32_e32 v1, 0x4f800000, v4
	v_rcp_f32_e32 v1, v1
	s_nop 0
	v_mul_f32_e32 v1, 0x5f7ffffc, v1
	v_mul_f32_e32 v4, 0x2f800000, v1
	v_trunc_f32_e32 v4, v4
	v_fmac_f32_e32 v1, 0xcf800000, v4
	v_cvt_u32_f32_e32 v7, v4
	v_cvt_u32_f32_e32 v1, v1
	v_mul_lo_u32 v4, s2, v7
	v_mul_hi_u32 v9, s2, v1
	v_mul_lo_u32 v5, s3, v1
	v_add_u32_e32 v9, v9, v4
	v_mul_lo_u32 v16, s2, v1
	v_add_u32_e32 v9, v9, v5
	v_mul_hi_u32 v4, v1, v16
	v_mul_hi_u32 v15, v1, v9
	v_mul_lo_u32 v14, v1, v9
	v_mov_b32_e32 v5, v6
	v_lshl_add_u64 v[4:5], v[4:5], 0, v[14:15]
	v_mul_hi_u32 v15, v7, v16
	v_mul_lo_u32 v16, v7, v16
	v_add_co_u32_e32 v4, vcc, v4, v16
	v_mul_hi_u32 v14, v7, v9
	s_nop 0
	v_addc_co_u32_e32 v4, vcc, v5, v15, vcc
	v_mov_b32_e32 v5, v6
	s_nop 0
	v_addc_co_u32_e32 v15, vcc, 0, v14, vcc
	v_mul_lo_u32 v14, v7, v9
	v_lshl_add_u64 v[4:5], v[4:5], 0, v[14:15]
	v_add_co_u32_e32 v1, vcc, v1, v4
	v_mul_lo_u32 v14, s2, v1
	s_nop 0
	v_addc_co_u32_e32 v7, vcc, v7, v5, vcc
	v_mul_lo_u32 v4, s2, v7
	v_mul_hi_u32 v5, s2, v1
	v_add_u32_e32 v4, v5, v4
	v_mul_lo_u32 v5, s3, v1
	v_add_u32_e32 v9, v4, v5
	v_mul_hi_u32 v17, v7, v14
	v_mul_lo_u32 v18, v7, v14
	v_mul_hi_u32 v5, v1, v9
	v_mul_lo_u32 v4, v1, v9
	v_mul_hi_u32 v14, v1, v14
	v_mov_b32_e32 v15, v6
	v_lshl_add_u64 v[4:5], v[14:15], 0, v[4:5]
	v_add_co_u32_e32 v4, vcc, v4, v18
	v_mul_hi_u32 v16, v7, v9
	s_nop 0
	v_addc_co_u32_e32 v4, vcc, v5, v17, vcc
	v_mul_lo_u32 v14, v7, v9
	s_nop 0
	v_addc_co_u32_e32 v15, vcc, 0, v16, vcc
	v_mov_b32_e32 v5, v6
	v_lshl_add_u64 v[4:5], v[4:5], 0, v[14:15]
	v_add_co_u32_e32 v1, vcc, v1, v4
	v_mul_hi_u32 v14, v12, v1
	s_nop 0
	v_addc_co_u32_e32 v7, vcc, v7, v5, vcc
	v_mad_u64_u32 v[4:5], s[2:3], v12, v7, 0
	v_mov_b32_e32 v15, v6
	v_lshl_add_u64 v[4:5], v[14:15], 0, v[4:5]
	v_mad_u64_u32 v[16:17], s[2:3], v13, v1, 0
	v_add_co_u32_e32 v1, vcc, v4, v16
	v_mad_u64_u32 v[14:15], s[2:3], v13, v7, 0
	s_nop 0
	v_addc_co_u32_e32 v4, vcc, v5, v17, vcc
	v_mov_b32_e32 v5, v6
	s_nop 0
	v_addc_co_u32_e32 v15, vcc, 0, v15, vcc
	v_lshl_add_u64 v[4:5], v[4:5], 0, v[14:15]
	v_mul_lo_u32 v1, s25, v4
	v_mul_lo_u32 v7, s24, v5
	v_mad_u64_u32 v[14:15], s[2:3], s24, v4, 0
	v_add3_u32 v1, v15, v7, v1
	v_sub_u32_e32 v7, v13, v1
	v_mov_b32_e32 v9, s25
	v_sub_co_u32_e32 v18, vcc, v12, v14
	v_lshl_add_u64 v[16:17], v[4:5], 0, 1
	s_nop 0
	v_subb_co_u32_e64 v7, s[2:3], v7, v9, vcc
	v_subrev_co_u32_e64 v9, s[2:3], s24, v18
	v_subb_co_u32_e32 v1, vcc, v13, v1, vcc
	s_nop 0
	v_subbrev_co_u32_e64 v7, s[2:3], 0, v7, s[2:3]
	v_cmp_le_u32_e64 s[2:3], s25, v7
	v_cmp_le_u32_e32 vcc, s25, v1
	s_nop 0
	v_cndmask_b32_e64 v14, 0, -1, s[2:3]
	v_cmp_le_u32_e64 s[2:3], s24, v9
	s_nop 1
	v_cndmask_b32_e64 v9, 0, -1, s[2:3]
	v_cmp_eq_u32_e64 s[2:3], s25, v7
	s_nop 1
	v_cndmask_b32_e64 v7, v14, v9, s[2:3]
	v_lshl_add_u64 v[14:15], v[4:5], 0, 2
	v_cmp_ne_u32_e64 s[2:3], 0, v7
	v_cndmask_b32_e64 v9, 0, -1, vcc
	v_cmp_le_u32_e32 vcc, s24, v18
	v_cndmask_b32_e64 v7, v17, v15, s[2:3]
	s_nop 0
	v_cndmask_b32_e64 v15, 0, -1, vcc
	v_cmp_eq_u32_e32 vcc, s25, v1
	s_nop 1
	v_cndmask_b32_e32 v1, v9, v15, vcc
	v_cmp_ne_u32_e32 vcc, 0, v1
	v_cndmask_b32_e64 v1, v16, v14, s[2:3]
	s_nop 0
	v_cndmask_b32_e32 v5, v5, v7, vcc
	v_cndmask_b32_e32 v4, v4, v1, vcc
.LBB0_4:                                ;   in Loop: Header=BB0_2 Depth=1
	s_andn2_saveexec_b64 s[2:3], s[26:27]
	s_cbranch_execz .LBB0_6
; %bb.5:                                ;   in Loop: Header=BB0_2 Depth=1
	v_cvt_f32_u32_e32 v1, s24
	s_sub_i32 s26, 0, s24
	v_rcp_iflag_f32_e32 v1, v1
	s_nop 0
	v_mul_f32_e32 v1, 0x4f7ffffe, v1
	v_cvt_u32_f32_e32 v1, v1
	v_mul_lo_u32 v4, s26, v1
	v_mul_hi_u32 v4, v1, v4
	v_add_u32_e32 v1, v1, v4
	v_mul_hi_u32 v1, v12, v1
	v_mul_lo_u32 v4, v1, s24
	v_sub_u32_e32 v4, v12, v4
	v_add_u32_e32 v5, 1, v1
	v_subrev_u32_e32 v7, s24, v4
	v_cmp_le_u32_e32 vcc, s24, v4
	s_nop 1
	v_cndmask_b32_e32 v4, v4, v7, vcc
	v_cndmask_b32_e32 v1, v1, v5, vcc
	v_add_u32_e32 v5, 1, v1
	v_cmp_le_u32_e32 vcc, s24, v4
	s_nop 1
	v_cndmask_b32_e32 v4, v1, v5, vcc
	v_mov_b32_e32 v5, v6
.LBB0_6:                                ;   in Loop: Header=BB0_2 Depth=1
	s_or_b64 exec, exec, s[2:3]
	v_mad_u64_u32 v[14:15], s[2:3], v4, s24, 0
	s_load_dwordx2 s[2:3], s[18:19], 0x0
	s_add_u32 s22, s22, 1
	v_mul_lo_u32 v1, v5, s24
	v_mul_lo_u32 v7, v4, s25
	s_load_dwordx2 s[24:25], s[16:17], 0x0
	s_addc_u32 s23, s23, 0
	v_add3_u32 v1, v15, v7, v1
	v_sub_co_u32_e32 v7, vcc, v12, v14
	s_add_u32 s16, s16, 8
	s_nop 0
	v_subb_co_u32_e32 v1, vcc, v13, v1, vcc
	s_addc_u32 s17, s17, 0
	s_waitcnt lgkmcnt(0)
	v_mul_lo_u32 v9, s2, v1
	v_mul_lo_u32 v12, s3, v7
	v_mad_u64_u32 v[10:11], s[2:3], s2, v7, v[10:11]
	s_add_u32 s18, s18, 8
	v_add3_u32 v11, v12, v11, v9
	s_addc_u32 s19, s19, 0
	v_mov_b64_e32 v[12:13], s[10:11]
	v_mul_lo_u32 v1, s24, v1
	v_mul_lo_u32 v9, s25, v7
	v_mad_u64_u32 v[2:3], s[2:3], s24, v7, v[2:3]
	s_add_u32 s20, s20, 8
	v_cmp_ge_u64_e32 vcc, s[22:23], v[12:13]
	v_add3_u32 v3, v9, v3, v1
	s_addc_u32 s21, s21, 0
	s_cbranch_vccnz .LBB0_8
; %bb.7:                                ;   in Loop: Header=BB0_2 Depth=1
	v_mov_b64_e32 v[12:13], v[4:5]
	s_branch .LBB0_2
.LBB0_8:
	s_load_dwordx2 s[0:1], s[0:1], 0x28
	s_lshl_b64 s[16:17], s[10:11], 3
	s_add_u32 s10, s14, s16
	s_addc_u32 s11, s15, s17
                                        ; implicit-def: $sgpr14
                                        ; implicit-def: $vgpr6
	s_waitcnt lgkmcnt(0)
	v_cmp_gt_u64_e32 vcc, s[0:1], v[4:5]
	v_cmp_le_u64_e64 s[0:1], s[0:1], v[4:5]
	s_and_saveexec_b64 s[2:3], s[0:1]
	s_xor_b64 s[0:1], exec, s[2:3]
; %bb.9:
	s_mov_b32 s2, 0x12492493
	v_mul_hi_u32 v1, v0, s2
	v_mul_u32_u24_e32 v1, 14, v1
	v_sub_u32_e32 v6, v0, v1
	s_mov_b32 s14, 0
                                        ; implicit-def: $vgpr0
                                        ; implicit-def: $vgpr10_vgpr11
; %bb.10:
	s_or_saveexec_b64 s[2:3], s[0:1]
	s_load_dwordx2 s[10:11], s[10:11], 0x0
	v_mov_b32_e32 v12, s14
	v_mov_b32_e32 v13, s14
                                        ; implicit-def: $vgpr16
                                        ; implicit-def: $vgpr22
                                        ; implicit-def: $vgpr14
                                        ; implicit-def: $vgpr20
                                        ; implicit-def: $vgpr18
	s_xor_b64 exec, exec, s[2:3]
	s_cbranch_execz .LBB0_14
; %bb.11:
	s_add_u32 s0, s12, s16
	s_addc_u32 s1, s13, s17
	s_load_dwordx2 s[0:1], s[0:1], 0x0
	s_mov_b32 s12, 0x12492493
                                        ; implicit-def: $vgpr23
	s_waitcnt lgkmcnt(0)
	v_mul_lo_u32 v1, s1, v4
	v_mul_lo_u32 v6, s0, v5
	v_mad_u64_u32 v[12:13], s[0:1], s0, v4, 0
	v_add3_u32 v13, v13, v6, v1
	v_mul_hi_u32 v1, v0, s12
	v_mul_u32_u24_e32 v1, 14, v1
	v_sub_u32_e32 v6, v0, v1
	v_lshl_add_u64 v[0:1], v[12:13], 3, s[4:5]
	v_lshl_add_u64 v[0:1], v[10:11], 3, v[0:1]
	v_lshlrev_b32_e32 v12, 3, v6
	v_mov_b32_e32 v13, 0
	v_lshl_add_u64 v[0:1], v[0:1], 0, v[12:13]
	global_load_dwordx2 v[14:15], v[0:1], off
	global_load_dwordx2 v[16:17], v[0:1], off offset:392
	global_load_dwordx2 v[20:21], v[0:1], off offset:280
	;; [unrolled: 1-line block ×3, first 2 shown]
	v_cmp_gt_u32_e64 s[0:1], 7, v6
	v_mov_b32_e32 v12, v13
	s_and_saveexec_b64 s[4:5], s[0:1]
	s_cbranch_execz .LBB0_13
; %bb.12:
	global_load_dwordx2 v[12:13], v[0:1], off offset:224
	global_load_dwordx2 v[22:23], v[0:1], off offset:504
.LBB0_13:
	s_or_b64 exec, exec, s[4:5]
.LBB0_14:
	s_or_b64 exec, exec, s[2:3]
	s_mov_b32 s0, 0x38e38e39
	v_mul_hi_u32 v0, v8, s0
	v_lshrrev_b32_e32 v0, 2, v0
	v_mul_lo_u32 v0, v0, 18
	v_sub_u32_e32 v0, v8, v0
	v_mul_u32_u24_e32 v7, 0x46, v0
	s_waitcnt vmcnt(1)
	v_sub_f32_e32 v9, v14, v20
	s_waitcnt vmcnt(0)
	v_sub_f32_e32 v25, v18, v16
	v_lshl_add_u32 v10, v6, 3, 0
	v_fma_f32 v8, v14, 2.0, -v9
	v_fma_f32 v24, v18, 2.0, -v25
	v_lshl_add_u32 v18, v7, 2, v10
	ds_write2_b64 v18, v[8:9], v[24:25] offset1:14
	v_add_u32_e32 v8, 28, v6
	v_pk_add_f32 v[0:1], v[12:13], v[22:23] neg_lo:[0,1] neg_hi:[0,1]
	v_add_u32_e32 v20, 0x70, v18
	v_cmp_gt_u32_e64 s[0:1], 7, v6
	v_lshlrev_b32_e32 v16, 3, v8
	v_lshlrev_b32_e32 v9, 2, v7
	s_and_saveexec_b64 s[2:3], s[0:1]
	s_cbranch_execz .LBB0_16
; %bb.15:
	v_add3_u32 v7, 0, v16, v9
	v_fma_f32 v22, v12, 2.0, -v0
	v_mov_b32_e32 v23, v0
	ds_write_b64 v7, v[22:23]
.LBB0_16:
	s_or_b64 exec, exec, s[2:3]
	v_lshlrev_b32_e32 v11, 2, v6
	v_sub_u32_e32 v10, v10, v11
	v_sub_f32_e32 v23, v15, v21
	v_add3_u32 v7, 0, v9, v11
	v_add_u32_e32 v36, v10, v9
	v_fma_f32 v22, v15, 2.0, -v23
	s_waitcnt lgkmcnt(0)
	s_barrier
	ds_read_b32 v8, v7
	ds_read2_b32 v[14:15], v36 offset0:14 offset1:28
	ds_read2_b32 v[10:11], v36 offset0:42 offset1:56
	v_sub_f32_e32 v25, v19, v17
	v_fma_f32 v24, v19, 2.0, -v25
	s_waitcnt lgkmcnt(0)
	s_barrier
	ds_write_b64 v18, v[22:23]
	ds_write_b64 v20, v[24:25]
	s_and_saveexec_b64 s[2:3], s[0:1]
	s_cbranch_execz .LBB0_18
; %bb.17:
	v_fma_f32 v12, v13, 2.0, -v1
	v_add3_u32 v16, 0, v16, v9
	v_mov_b32_e32 v13, v1
	ds_write_b64 v16, v[12:13]
.LBB0_18:
	s_or_b64 exec, exec, s[2:3]
	v_and_b32_e32 v18, 1, v6
	v_lshlrev_b32_e32 v12, 5, v18
	s_waitcnt lgkmcnt(0)
	s_barrier
	global_load_dwordx4 v[26:29], v12, s[8:9] offset:16
	global_load_dwordx4 v[32:35], v12, s[8:9]
	ds_read_b32 v20, v7
	ds_read2_b32 v[12:13], v36 offset0:14 offset1:28
	ds_read2_b32 v[16:17], v36 offset0:42 offset1:56
	v_mov_b32_e32 v39, v14
	v_lshrrev_b32_e32 v14, 1, v6
	v_mul_u32_u24_e32 v14, 10, v14
	v_or_b32_e32 v14, v14, v18
	v_lshlrev_b32_e32 v14, 2, v14
	v_mov_b32_e32 v38, v15
	v_add3_u32 v37, 0, v14, v9
	s_waitcnt lgkmcnt(1)
	v_mov_b32_e32 v14, v13
	v_mov_b32_e32 v15, v12
	s_mov_b32 s2, 0x3f737871
	v_mov_b32_e32 v22, v11
	s_mov_b32 s3, 0x3f167918
	;; [unrolled: 2-line block ×3, first 2 shown]
	v_cmp_gt_u32_e64 s[0:1], 10, v6
	s_waitcnt lgkmcnt(0)
	s_barrier
	s_waitcnt vmcnt(1)
	v_mul_f32_e32 v24, v10, v27
	v_mul_f32_e32 v30, v17, v28
	s_waitcnt vmcnt(0)
	v_mov_b32_e32 v13, v32
	v_mov_b32_e32 v32, v35
	;; [unrolled: 1-line block ×6, first 2 shown]
	v_fmac_f32_e32 v24, v16, v26
	v_pk_mul_f32 v[26:27], v[38:39], v[32:33]
	v_pk_mul_f32 v[32:33], v[14:15], v[32:33]
	;; [unrolled: 1-line block ×3, first 2 shown]
	v_mov_b32_e32 v18, v29
	v_pk_fma_f32 v[28:29], v[14:15], v[12:13], v[26:27]
	v_pk_fma_f32 v[12:13], v[38:39], v[12:13], v[32:33] neg_lo:[0,0,1] neg_hi:[0,0,1]
	v_pk_fma_f32 v[10:11], v[10:11], v[34:35], v[16:17] neg_lo:[0,0,1] neg_hi:[0,0,1]
	v_add_f32_e32 v9, v28, v24
	v_pk_add_f32 v[32:33], v[12:13], v[12:13] op_sel:[0,1] op_sel_hi:[1,0] neg_lo:[0,1] neg_hi:[0,1]
	v_pk_add_f32 v[34:35], v[10:11], v[10:11] op_sel:[0,1] op_sel_hi:[1,0] neg_lo:[0,1] neg_hi:[0,1]
	v_pk_add_f32 v[26:27], v[12:13], v[10:11] neg_lo:[0,1] neg_hi:[0,1]
	v_pk_add_f32 v[42:43], v[32:33], v[34:35]
	v_fma_f32 v21, -0.5, v9, v20
	v_pk_mul_f32 v[32:33], v[26:27], s[2:3] op_sel_hi:[1,0]
	v_pk_add_f32 v[14:15], v[12:13], v[10:11]
	v_mov_b32_e32 v23, v26
	v_sub_f32_e32 v31, v21, v33
	v_mov_b32_e32 v16, v13
	v_mul_f32_e32 v17, 0.5, v14
	v_pk_fma_f32 v[34:35], v[22:23], v[18:19], v[30:31]
	v_pk_add_f32 v[38:39], v[8:9], v[12:13] op_sel:[0,1] op_sel_hi:[1,0]
	v_fma_f32 v14, -0.5, v15, v8
	v_pk_add_f32 v[8:9], v[8:9], v[16:17] op_sel_hi:[0,1] neg_lo:[0,1] neg_hi:[0,1]
	v_mov_b32_e32 v25, v34
	v_mov_b32_e32 v39, v9
	;; [unrolled: 1-line block ×3, first 2 shown]
	v_pk_add_f32 v[8:9], v[28:29], v[24:25] neg_lo:[0,1] neg_hi:[0,1]
	v_mov_b32_e32 v40, v11
	v_pk_mul_f32 v[16:17], v[8:9], s[2:3]
	v_mul_f32_e32 v9, 0x3f737871, v9
	v_mov_b32_e32 v13, v9
	v_mul_f32_e32 v11, 0x3f167918, v8
	v_mov_b32_e32 v8, v16
	v_pk_add_f32 v[12:13], v[38:39], v[12:13]
	v_pk_add_f32 v[8:9], v[14:15], v[8:9] neg_lo:[0,1] neg_hi:[0,1]
	v_pk_add_f32 v[12:13], v[12:13], v[10:11]
	v_mov_b32_e32 v10, v17
	v_pk_mul_f32 v[44:45], v[42:43], s[4:5] op_sel_hi:[1,0]
	v_add_f32_e32 v26, v16, v14
	v_pk_add_f32 v[14:15], v[8:9], v[10:11]
	v_pk_add_f32 v[10:11], v[8:9], v[10:11] neg_lo:[0,1] neg_hi:[0,1]
	v_mov_b32_e32 v41, v45
	v_sub_f32_e32 v16, v26, v17
	v_mov_b32_e32 v15, v11
	v_add_f32_e32 v17, v44, v16
	v_pk_add_f32 v[8:9], v[40:41], v[12:13]
	v_pk_fma_f32 v[10:11], v[42:43], s[4:5], v[14:15] op_sel_hi:[1,0,1]
	v_cmp_lt_u32_e64 s[2:3], 9, v6
	ds_write2_b32 v37, v8, v9 offset1:2
	ds_write2_b32 v37, v10, v17 offset0:4 offset1:6
	ds_write_b32 v37, v11 offset:32
	s_waitcnt lgkmcnt(0)
	s_barrier
	s_waitcnt lgkmcnt(0)
                                        ; implicit-def: $vgpr14_vgpr15
                                        ; implicit-def: $vgpr12_vgpr13
	s_and_saveexec_b64 s[4:5], s[2:3]
	s_xor_b64 s[4:5], exec, s[4:5]
; %bb.19:
	v_mov_b32_e32 v16, v0
	v_mov_b64_e32 v[14:15], v[16:17]
	v_mov_b64_e32 v[12:13], v[10:11]
; %bb.20:
	s_or_saveexec_b64 s[4:5], s[4:5]
	v_pk_mul_f32 v[22:23], v[22:23], v[18:19]
                                        ; implicit-def: $vgpr19
	s_xor_b64 exec, exec, s[4:5]
	s_cbranch_execz .LBB0_22
; %bb.21:
	ds_read2_b32 v[16:17], v36 offset0:10 offset1:20
	ds_read2_b32 v[38:39], v36 offset0:30 offset1:40
	;; [unrolled: 1-line block ×3, first 2 shown]
	ds_read_b32 v8, v7
	s_waitcnt lgkmcnt(3)
	v_mov_b32_e32 v12, v17
	s_waitcnt lgkmcnt(2)
	v_mov_b32_e32 v13, v39
	;; [unrolled: 2-line block ×3, first 2 shown]
	v_mov_b32_e32 v15, v38
	v_mov_b32_e32 v10, v17
	;; [unrolled: 1-line block ×6, first 2 shown]
.LBB0_22:
	s_or_b64 exec, exec, s[4:5]
	v_add_f32_e32 v16, v20, v29
	v_add_f32_e32 v16, v16, v28
	;; [unrolled: 1-line block ×4, first 2 shown]
	v_pk_add_f32 v[30:31], v[30:31], v[22:23] neg_lo:[0,1] neg_hi:[0,1]
	v_fmac_f32_e32 v20, -0.5, v16
	v_mov_b32_e32 v35, v31
	v_pk_add_f32 v[30:31], v[32:33], v[20:21]
	v_mul_f32_e32 v40, 0x3f167918, v27
	v_mov_b32_e32 v41, v23
	v_pk_add_f32 v[40:41], v[30:31], v[40:41] neg_lo:[0,1] neg_hi:[0,1]
	v_pk_add_f32 v[22:23], v[30:31], v[22:23]
	s_mov_b32 s4, 0x3e9e377a
	v_mov_b32_e32 v41, v23
	v_pk_add_f32 v[22:23], v[28:29], v[28:29] op_sel:[0,1] op_sel_hi:[1,0] neg_lo:[0,1] neg_hi:[0,1]
	v_mov_b32_e32 v28, v34
	v_mov_b32_e32 v29, v24
	v_pk_add_f32 v[24:25], v[24:25], v[28:29] neg_lo:[0,1] neg_hi:[0,1]
	v_sub_f32_e32 v16, v20, v32
	v_pk_add_f32 v[24:25], v[22:23], v[24:25]
	v_fmac_f32_e32 v16, 0x3f167918, v27
	v_pk_mul_f32 v[28:29], v[24:25], s[4:5] op_sel_hi:[1,0]
	v_pk_fma_f32 v[24:25], v[24:25], s[4:5], v[40:41] op_sel_hi:[1,0,1]
	v_mov_b32_e32 v39, v29
	v_pk_add_f32 v[22:23], v[38:39], v[34:35]
	v_add_f32_e32 v21, v28, v16
	s_waitcnt lgkmcnt(0)
	s_barrier
	ds_write2_b32 v37, v22, v23 offset1:2
	ds_write2_b32 v37, v24, v21 offset0:4 offset1:6
	ds_write_b32 v37, v25 offset:32
	s_waitcnt lgkmcnt(0)
	s_barrier
	s_waitcnt lgkmcnt(0)
                                        ; implicit-def: $vgpr28_vgpr29
                                        ; implicit-def: $vgpr26_vgpr27
	s_and_saveexec_b64 s[4:5], s[2:3]
	s_xor_b64 s[2:3], exec, s[4:5]
; %bb.23:
	v_mov_b32_e32 v20, v1
	v_mov_b64_e32 v[28:29], v[20:21]
	v_mov_b64_e32 v[26:27], v[24:25]
                                        ; implicit-def: $vgpr7
                                        ; implicit-def: $vgpr36
; %bb.24:
	s_or_saveexec_b64 s[2:3], s[2:3]
                                        ; implicit-def: $vgpr31
	s_xor_b64 exec, exec, s[2:3]
	s_cbranch_execz .LBB0_26
; %bb.25:
	ds_read2_b32 v[20:21], v36 offset0:10 offset1:20
	ds_read2_b32 v[32:33], v36 offset0:30 offset1:40
	;; [unrolled: 1-line block ×3, first 2 shown]
	ds_read_b32 v22, v7
	s_waitcnt lgkmcnt(3)
	v_mov_b32_e32 v26, v21
	s_waitcnt lgkmcnt(2)
	v_mov_b32_e32 v27, v33
	;; [unrolled: 2-line block ×3, first 2 shown]
	v_mov_b32_e32 v29, v32
	v_mov_b32_e32 v24, v21
	v_mov_b32_e32 v25, v33
	v_mov_b32_e32 v1, v30
	v_mov_b32_e32 v21, v32
	v_mov_b32_e32 v23, v20
.LBB0_26:
	s_or_b64 exec, exec, s[2:3]
	v_cmp_gt_u32_e64 s[2:3], 10, v6
	s_and_b64 s[2:3], vcc, s[2:3]
	s_and_saveexec_b64 s[4:5], s[2:3]
	s_cbranch_execz .LBB0_28
; %bb.27:
	v_add_u32_e32 v7, -10, v6
	v_cndmask_b32_e64 v7, v7, v6, s[0:1]
	v_mul_i32_i24_e32 v44, 6, v7
	v_mov_b32_e32 v45, 0
	v_lshl_add_u64 v[46:47], v[44:45], 3, s[8:9]
	global_load_dwordx4 v[32:35], v[46:47], off offset:64
	global_load_dwordx4 v[36:39], v[46:47], off offset:96
	;; [unrolled: 1-line block ×3, first 2 shown]
	v_mul_lo_u32 v7, s11, v4
	v_mul_lo_u32 v16, s10, v5
	v_mad_u64_u32 v[4:5], s[0:1], s10, v4, 0
	v_add3_u32 v5, v5, v16, v7
	v_lshl_add_u64 v[4:5], v[4:5], 3, s[6:7]
	v_mov_b32_e32 v7, v45
	v_lshl_add_u64 v[2:3], v[2:3], 3, v[4:5]
	v_lshl_add_u64 v[2:3], v[6:7], 3, v[2:3]
	s_mov_b32 s2, 0xbf08b237
	s_mov_b32 s3, 0x3eae86e6
	s_mov_b32 s4, 0x3f4a47b2
	s_mov_b32 s5, 0x3d64c772
	s_mov_b32 s8, s3
	s_mov_b32 s9, s2
	s_mov_b32 s6, s5
	s_mov_b32 s7, s4
	s_mov_b32 s0, 0x3ee1c552
	s_waitcnt vmcnt(2)
	v_mul_f32_e32 v6, v9, v33
	s_waitcnt vmcnt(1)
	v_mul_f32_e32 v4, v19, v39
	v_mul_f32_e32 v5, v23, v33
	;; [unrolled: 1-line block ×5, first 2 shown]
	s_waitcnt vmcnt(0)
	v_mul_f32_e32 v1, v17, v41
	v_mul_f32_e32 v17, v21, v40
	v_mov_b32_e32 v18, v37
	v_mov_b32_e32 v44, v37
	;; [unrolled: 1-line block ×7, first 2 shown]
	v_fmac_f32_e32 v4, v31, v38
	v_fmac_f32_e32 v6, v23, v32
	v_mul_f32_e32 v21, v11, v43
	v_mov_b32_e32 v41, v42
	v_fma_f32 v24, v9, v32, -v5
	v_fma_f32 v20, v19, v38, -v7
	;; [unrolled: 1-line block ×4, first 2 shown]
	s_waitcnt lgkmcnt(0)
	v_mov_b32_e32 v9, v22
	v_pk_mul_f32 v[10:11], v[28:29], v[36:37]
	v_pk_mul_f32 v[22:23], v[26:27], v[34:35]
	v_add_f32_e32 v19, v6, v4
	v_mul_f32_e32 v25, v25, v42
	v_sub_f32_e32 v5, v16, v0
	v_pk_add_f32 v[0:1], v[16:17], v[0:1]
	v_pk_fma_f32 v[16:17], v[14:15], v[18:19], v[10:11]
	v_pk_fma_f32 v[10:11], v[14:15], v[44:45], v[10:11] neg_lo:[0,0,1] neg_hi:[0,0,1]
	v_pk_fma_f32 v[14:15], v[12:13], v[30:31], v[22:23]
	v_pk_fma_f32 v[12:13], v[12:13], v[40:41], v[22:23] neg_lo:[0,0,1] neg_hi:[0,0,1]
	v_pk_add_f32 v[26:27], v[24:25], v[20:21]
	v_mov_b32_e32 v17, v11
	v_mov_b32_e32 v15, v13
	;; [unrolled: 1-line block ×7, first 2 shown]
	v_pk_add_f32 v[12:13], v[14:15], v[16:17]
	v_pk_add_f32 v[14:15], v[14:15], v[16:17] neg_lo:[0,1] neg_hi:[0,1]
	v_pk_add_f32 v[16:17], v[20:21], v[22:23] neg_lo:[0,1] neg_hi:[0,1]
	v_mov_b32_e32 v7, v15
	v_mov_b32_e32 v10, v11
	v_pk_add_f32 v[20:21], v[14:15], v[4:5]
	v_pk_add_f32 v[28:29], v[16:17], v[14:15]
	v_mov_b32_e32 v11, v12
	v_pk_add_f32 v[6:7], v[6:7], v[4:5] neg_lo:[0,1] neg_hi:[0,1]
	v_pk_add_f32 v[24:25], v[26:27], v[0:1]
	v_mov_b32_e32 v29, v17
	v_pk_add_f32 v[10:11], v[18:19], v[10:11]
	v_mov_b32_e32 v7, v21
	v_mov_b32_e32 v27, v25
	v_mov_b32_e32 v1, v25
	v_mov_b32_e32 v4, v16
	v_pk_add_f32 v[20:21], v[24:25], v[10:11]
	v_mov_b32_e32 v11, v12
	v_pk_add_f32 v[24:25], v[28:29], v[6:7]
	v_mov_b32_e32 v7, v15
	v_pk_add_f32 v[28:29], v[26:27], v[10:11] neg_lo:[0,1] neg_hi:[0,1]
	v_mov_b32_e32 v11, v19
	v_pk_add_f32 v[32:33], v[6:7], v[4:5] neg_lo:[0,1] neg_hi:[0,1]
	v_pk_add_f32 v[22:23], v[16:17], v[14:15] neg_lo:[0,1] neg_hi:[0,1]
	v_pk_add_f32 v[8:9], v[8:9], v[20:21]
	v_pk_mul_f32 v[28:29], v[28:29], s[4:5]
	v_pk_add_f32 v[10:11], v[10:11], v[0:1] neg_lo:[0,1] neg_hi:[0,1]
	v_pk_mul_f32 v[32:33], v[32:33], s[8:9]
	s_mov_b32 s4, 0xbf955555
	v_pk_mul_f32 v[30:31], v[22:23], s[2:3]
	v_pk_mul_f32 v[34:35], v[10:11], s[6:7]
	v_pk_fma_f32 v[10:11], v[10:11], s[6:7], v[28:29]
	v_pk_fma_f32 v[20:21], v[20:21], s[4:5], v[8:9] op_sel_hi:[1,0,1]
	v_pk_fma_f32 v[22:23], v[22:23], s[2:3], v[32:33]
	v_pk_add_f32 v[10:11], v[10:11], v[20:21]
	v_pk_fma_f32 v[22:23], v[24:25], s[0:1], v[22:23] op_sel_hi:[1,0,1]
	global_store_dwordx2 v[2:3], v[8:9], off
	v_pk_add_f32 v[36:37], v[10:11], v[22:23]
	v_pk_add_f32 v[10:11], v[10:11], v[22:23] neg_lo:[0,1] neg_hi:[0,1]
	v_mov_b32_e32 v8, v36
	v_mov_b32_e32 v9, v11
	;; [unrolled: 1-line block ×6, first 2 shown]
	global_store_dwordx2 v[2:3], v[8:9], off offset:80
	v_pk_add_f32 v[0:1], v[0:1], v[26:27] neg_lo:[0,1] neg_hi:[0,1]
	s_mov_b32 s2, 0x3f3bfb3b
	v_pk_add_f32 v[4:5], v[14:15], v[6:7] neg_lo:[0,1] neg_hi:[0,1]
	s_mov_b32 s4, 0x3f5ff5aa
	v_mov_b32_e32 v6, v28
	v_mov_b32_e32 v7, v35
	;; [unrolled: 1-line block ×4, first 2 shown]
	v_pk_fma_f32 v[6:7], v[0:1], s[2:3], v[6:7] op_sel_hi:[1,0,1] neg_lo:[1,0,1] neg_hi:[1,0,1]
	v_pk_fma_f32 v[8:9], v[4:5], s[4:5], v[8:9] op_sel_hi:[1,0,1] neg_lo:[1,0,1] neg_hi:[1,0,1]
	v_pk_add_f32 v[6:7], v[6:7], v[20:21]
	v_pk_fma_f32 v[8:9], v[24:25], s[0:1], v[8:9] op_sel_hi:[1,0,1]
	v_mov_b32_e32 v31, v33
	v_mov_b32_e32 v35, v29
	v_pk_add_f32 v[12:13], v[6:7], v[8:9]
	v_pk_add_f32 v[6:7], v[6:7], v[8:9] neg_lo:[0,1] neg_hi:[0,1]
	v_pk_fma_f32 v[4:5], v[4:5], s[4:5], v[30:31] op_sel_hi:[1,0,1] neg_lo:[0,0,1] neg_hi:[0,0,1]
	v_pk_fma_f32 v[0:1], v[0:1], s[2:3], v[34:35] op_sel_hi:[1,0,1] neg_lo:[0,0,1] neg_hi:[0,0,1]
	v_mov_b32_e32 v8, v12
	v_mov_b32_e32 v9, v7
	v_pk_fma_f32 v[4:5], v[24:25], s[0:1], v[4:5] op_sel_hi:[1,0,1]
	v_pk_add_f32 v[0:1], v[0:1], v[20:21]
	global_store_dwordx2 v[2:3], v[8:9], off offset:160
	v_pk_add_f32 v[8:9], v[0:1], v[4:5] neg_lo:[0,1] neg_hi:[0,1]
	v_pk_add_f32 v[0:1], v[0:1], v[4:5]
	v_mov_b32_e32 v4, v8
	v_mov_b32_e32 v5, v1
	;; [unrolled: 1-line block ×5, first 2 shown]
	global_store_dwordx2 v[2:3], v[4:5], off offset:240
	global_store_dwordx2 v[2:3], v[0:1], off offset:320
	;; [unrolled: 1-line block ×4, first 2 shown]
.LBB0_28:
	s_endpgm
	.section	.rodata,"a",@progbits
	.p2align	6, 0x0
	.amdhsa_kernel fft_rtc_fwd_len70_factors_2_5_7_wgs_252_tpt_14_halfLds_sp_op_CI_CI_unitstride_sbrr_dirReg
		.amdhsa_group_segment_fixed_size 0
		.amdhsa_private_segment_fixed_size 0
		.amdhsa_kernarg_size 104
		.amdhsa_user_sgpr_count 2
		.amdhsa_user_sgpr_dispatch_ptr 0
		.amdhsa_user_sgpr_queue_ptr 0
		.amdhsa_user_sgpr_kernarg_segment_ptr 1
		.amdhsa_user_sgpr_dispatch_id 0
		.amdhsa_user_sgpr_kernarg_preload_length 0
		.amdhsa_user_sgpr_kernarg_preload_offset 0
		.amdhsa_user_sgpr_private_segment_size 0
		.amdhsa_uses_dynamic_stack 0
		.amdhsa_enable_private_segment 0
		.amdhsa_system_sgpr_workgroup_id_x 1
		.amdhsa_system_sgpr_workgroup_id_y 0
		.amdhsa_system_sgpr_workgroup_id_z 0
		.amdhsa_system_sgpr_workgroup_info 0
		.amdhsa_system_vgpr_workitem_id 0
		.amdhsa_next_free_vgpr 48
		.amdhsa_next_free_sgpr 28
		.amdhsa_accum_offset 48
		.amdhsa_reserve_vcc 1
		.amdhsa_float_round_mode_32 0
		.amdhsa_float_round_mode_16_64 0
		.amdhsa_float_denorm_mode_32 3
		.amdhsa_float_denorm_mode_16_64 3
		.amdhsa_dx10_clamp 1
		.amdhsa_ieee_mode 1
		.amdhsa_fp16_overflow 0
		.amdhsa_tg_split 0
		.amdhsa_exception_fp_ieee_invalid_op 0
		.amdhsa_exception_fp_denorm_src 0
		.amdhsa_exception_fp_ieee_div_zero 0
		.amdhsa_exception_fp_ieee_overflow 0
		.amdhsa_exception_fp_ieee_underflow 0
		.amdhsa_exception_fp_ieee_inexact 0
		.amdhsa_exception_int_div_zero 0
	.end_amdhsa_kernel
	.text
.Lfunc_end0:
	.size	fft_rtc_fwd_len70_factors_2_5_7_wgs_252_tpt_14_halfLds_sp_op_CI_CI_unitstride_sbrr_dirReg, .Lfunc_end0-fft_rtc_fwd_len70_factors_2_5_7_wgs_252_tpt_14_halfLds_sp_op_CI_CI_unitstride_sbrr_dirReg
                                        ; -- End function
	.section	.AMDGPU.csdata,"",@progbits
; Kernel info:
; codeLenInByte = 3680
; NumSgprs: 34
; NumVgprs: 48
; NumAgprs: 0
; TotalNumVgprs: 48
; ScratchSize: 0
; MemoryBound: 0
; FloatMode: 240
; IeeeMode: 1
; LDSByteSize: 0 bytes/workgroup (compile time only)
; SGPRBlocks: 4
; VGPRBlocks: 5
; NumSGPRsForWavesPerEU: 34
; NumVGPRsForWavesPerEU: 48
; AccumOffset: 48
; Occupancy: 8
; WaveLimiterHint : 1
; COMPUTE_PGM_RSRC2:SCRATCH_EN: 0
; COMPUTE_PGM_RSRC2:USER_SGPR: 2
; COMPUTE_PGM_RSRC2:TRAP_HANDLER: 0
; COMPUTE_PGM_RSRC2:TGID_X_EN: 1
; COMPUTE_PGM_RSRC2:TGID_Y_EN: 0
; COMPUTE_PGM_RSRC2:TGID_Z_EN: 0
; COMPUTE_PGM_RSRC2:TIDIG_COMP_CNT: 0
; COMPUTE_PGM_RSRC3_GFX90A:ACCUM_OFFSET: 11
; COMPUTE_PGM_RSRC3_GFX90A:TG_SPLIT: 0
	.text
	.p2alignl 6, 3212836864
	.fill 256, 4, 3212836864
	.type	__hip_cuid_3253cf26319e8b95,@object ; @__hip_cuid_3253cf26319e8b95
	.section	.bss,"aw",@nobits
	.globl	__hip_cuid_3253cf26319e8b95
__hip_cuid_3253cf26319e8b95:
	.byte	0                               ; 0x0
	.size	__hip_cuid_3253cf26319e8b95, 1

	.ident	"AMD clang version 19.0.0git (https://github.com/RadeonOpenCompute/llvm-project roc-6.4.0 25133 c7fe45cf4b819c5991fe208aaa96edf142730f1d)"
	.section	".note.GNU-stack","",@progbits
	.addrsig
	.addrsig_sym __hip_cuid_3253cf26319e8b95
	.amdgpu_metadata
---
amdhsa.kernels:
  - .agpr_count:     0
    .args:
      - .actual_access:  read_only
        .address_space:  global
        .offset:         0
        .size:           8
        .value_kind:     global_buffer
      - .offset:         8
        .size:           8
        .value_kind:     by_value
      - .actual_access:  read_only
        .address_space:  global
        .offset:         16
        .size:           8
        .value_kind:     global_buffer
      - .actual_access:  read_only
        .address_space:  global
        .offset:         24
        .size:           8
        .value_kind:     global_buffer
      - .actual_access:  read_only
        .address_space:  global
        .offset:         32
        .size:           8
        .value_kind:     global_buffer
      - .offset:         40
        .size:           8
        .value_kind:     by_value
      - .actual_access:  read_only
        .address_space:  global
        .offset:         48
        .size:           8
        .value_kind:     global_buffer
      - .actual_access:  read_only
        .address_space:  global
        .offset:         56
        .size:           8
        .value_kind:     global_buffer
      - .offset:         64
        .size:           4
        .value_kind:     by_value
      - .actual_access:  read_only
        .address_space:  global
        .offset:         72
        .size:           8
        .value_kind:     global_buffer
      - .actual_access:  read_only
        .address_space:  global
        .offset:         80
        .size:           8
        .value_kind:     global_buffer
      - .actual_access:  read_only
        .address_space:  global
        .offset:         88
        .size:           8
        .value_kind:     global_buffer
      - .actual_access:  write_only
        .address_space:  global
        .offset:         96
        .size:           8
        .value_kind:     global_buffer
    .group_segment_fixed_size: 0
    .kernarg_segment_align: 8
    .kernarg_segment_size: 104
    .language:       OpenCL C
    .language_version:
      - 2
      - 0
    .max_flat_workgroup_size: 252
    .name:           fft_rtc_fwd_len70_factors_2_5_7_wgs_252_tpt_14_halfLds_sp_op_CI_CI_unitstride_sbrr_dirReg
    .private_segment_fixed_size: 0
    .sgpr_count:     34
    .sgpr_spill_count: 0
    .symbol:         fft_rtc_fwd_len70_factors_2_5_7_wgs_252_tpt_14_halfLds_sp_op_CI_CI_unitstride_sbrr_dirReg.kd
    .uniform_work_group_size: 1
    .uses_dynamic_stack: false
    .vgpr_count:     48
    .vgpr_spill_count: 0
    .wavefront_size: 64
amdhsa.target:   amdgcn-amd-amdhsa--gfx950
amdhsa.version:
  - 1
  - 2
...

	.end_amdgpu_metadata
